;; amdgpu-corpus repo=ROCm/aiter kind=harvested arch=n/a opt=n/a

/root/src/amdgpu-assembly/repos/ROCm__aiter/hsa/gfx942/fmha_v3_bwd/bwd_hd128_odo_fp16.co:	file format elf64-amdgpu

Disassembly of section .text:

0000000000002400 <_ZN5aiter23fmha_bwd_hd128_odo_fp16E>:
	s_and_b32 s1, s1, 0xffff                                   // 000000002400: 8601FF01 0000FFFF
	s_load_dwordx2 s[12:13], s[0:1], 0x0                       // 000000002408: C0060300 00000000
	s_load_dwordx2 s[20:21], s[0:1], 0x10                      // 000000002410: C0060500 00000010
	s_load_dwordx2 s[16:17], s[0:1], 0x20                      // 000000002418: C0060400 00000020
	s_load_dword s6, s[0:1], 0x30                              // 000000002420: C0020180 00000030
	s_load_dword s8, s[0:1], 0x50                              // 000000002428: C0020200 00000050
	s_load_dword s50, s[0:1], 0x60                             // 000000002430: C0020C80 00000060
	s_load_dword s52, s[0:1], 0x80                             // 000000002438: C0020D00 00000080
	s_load_dword s9, s[0:1], 0x90                              // 000000002440: C0020240 00000090
	s_load_dword s11, s[0:1], 0xb0                             // 000000002448: C00202C0 000000B0
	s_load_dword s37, s[0:1], 0xd0                             // 000000002450: C0020940 000000D0
	s_load_dword s7, s[0:1], 0x40                              // 000000002458: C00201C0 00000040
	s_load_dword s51, s[0:1], 0x70                             // 000000002460: C0020CC0 00000070
	s_load_dword s10, s[0:1], 0xa0                             // 000000002468: C0020280 000000A0
	s_load_dword s39, s[0:1], 0xc0                             // 000000002470: C00209C0 000000C0
	v_lshrrev_b32_e32 v1, 10, v0                               // 000000002478: 2002008A
	v_lshrrev_b32_e32 v2, 10, v1                               // 00000000247C: 2004028A
	v_and_b32_e32 v2, 0x3ff, v2                                // 000000002480: 260404FF 000003FF
	v_and_b32_e32 v1, 0x3ff, v1                                // 000000002488: 260202FF 000003FF
	v_and_b32_e32 v0, 0x3ff, v0                                // 000000002490: 260000FF 000003FF
	v_lshrrev_b32_e32 v3, 6, v0                                // 000000002498: 20060086
	v_and_b32_e32 v0, 63, v0                                   // 00000000249C: 260000BF
	s_mov_b32 s2, s2                                           // 0000000024A0: BE820002
	s_mov_b32 s3, s3                                           // 0000000024A4: BE830003
	s_mov_b32 s4, s4                                           // 0000000024A8: BE840004
	v_readfirstlane_b32 s30, v3                                // 0000000024AC: 7E3C0503
	s_waitcnt lgkmcnt(0)                                       // 0000000024B0: BF8CC07F
	s_mov_b32 s15, 0x20000                                     // 0000000024B4: BE8F00FF 00020000
	s_mov_b32 s19, 0x20000                                     // 0000000024BC: BE9300FF 00020000
	s_mov_b32 s23, 0x20000                                     // 0000000024C4: BE9700FF 00020000
	s_and_b32 s13, s13, 0xffff                                 // 0000000024CC: 860DFF0D 0000FFFF
	s_and_b32 s17, s17, 0xffff                                 // 0000000024D4: 8611FF11 0000FFFF
	s_and_b32 s21, s21, 0xffff                                 // 0000000024DC: 8615FF15 0000FFFF
	s_or_b32 s13, s13, 0x40000                                 // 0000000024E4: 870DFF0D 00040000
	s_or_b32 s17, s17, 0x40000                                 // 0000000024EC: 8711FF11 00040000
	s_or_b32 s21, s21, 0x40000                                 // 0000000024F4: 8715FF15 00040000
	v_mov_b32_e32 v39, 0                                       // 0000000024FC: 7E4E0280
	s_mov_b32 s24, s12                                         // 000000002500: BE98000C
	s_mov_b32 s25, s13                                         // 000000002504: BE99000D
	s_mov_b32 s26, s16                                         // 000000002508: BE9A0010
	s_mov_b32 s27, s17                                         // 00000000250C: BE9B0011
	s_mov_b32 s28, s20                                         // 000000002510: BE9C0014
	s_mov_b32 s29, s21                                         // 000000002514: BE9D0015
	s_mul_i32 s31, s8, 0x80                                    // 000000002518: 921FFF08 00000080
	s_mul_i32 s31, s2, s31                                     // 000000002520: 921F1F02
	s_mul_i32 s32, s3, s6                                      // 000000002524: 92200603
	s_mul_i32 s33, s4, s7                                      // 000000002528: 92210704
	s_add_u32 s34, s31, s32                                    // 00000000252C: 8022201F
	s_add_u32 s34, s34, s33                                    // 000000002530: 80222122
	s_mul_i32 s32, s39, s8                                     // 000000002534: 92200827
	s_sub_i32 s32, s32, s31                                    // 000000002538: 81A01F20
	s_mov_b32 s14, s32                                         // 00000000253C: BE8E0020
	s_add_u32 s12, s34, s24                                    // 000000002540: 800C1822
	s_addc_u32 s13, 0, s25                                     // 000000002544: 820D1980
	s_mul_i32 s31, s52, 0x80                                   // 000000002548: 921FFF34 00000080
	s_mul_i32 s31, s2, s31                                     // 000000002550: 921F1F02
	s_mul_i32 s32, s3, s50                                     // 000000002554: 92203203
	s_mul_i32 s33, s4, s51                                     // 000000002558: 92213304
	s_add_u32 s53, s31, s32                                    // 00000000255C: 8035201F
	s_add_u32 s53, s53, s33                                    // 000000002560: 80352135
	s_mul_i32 s32, s39, s52                                    // 000000002564: 92203427
	s_sub_i32 s32, s32, s31                                    // 000000002568: 81A01F20
	s_mov_b32 s22, s32                                         // 00000000256C: BE960020
	s_add_u32 s20, s53, s28                                    // 000000002570: 80141C35
	s_addc_u32 s21, 0, s29                                     // 000000002574: 82151D80
	s_mul_i32 s31, s11, 0x80                                   // 000000002578: 921FFF0B 00000080
	s_mul_i32 s31, s2, s31                                     // 000000002580: 921F1F02
	s_mul_i32 s32, s3, s9                                      // 000000002584: 92200903
	s_mul_i32 s33, s4, s10                                     // 000000002588: 92210A04
	s_add_u32 s35, s31, s32                                    // 00000000258C: 8023201F
	s_add_u32 s35, s35, s33                                    // 000000002590: 80232123
	s_mul_i32 s32, s39, s11                                    // 000000002594: 92200B27
	s_sub_i32 s32, s32, s31                                    // 000000002598: 81A01F20
	s_mov_b32 s18, s32                                         // 00000000259C: BE920020
	s_add_u32 s16, s35, s26                                    // 0000000025A0: 80101A23
	s_addc_u32 s17, 0, s27                                     // 0000000025A4: 82111B80
	v_readfirstlane_b32 s30, v3                                // 0000000025A8: 7E3C0503
	v_lshrrev_b32_e32 v28, 3, v0                               // 0000000025AC: 20380083
	v_mul_i32_i24_e32 v28, s8, v28                             // 0000000025B0: 0C383808
	v_and_b32_e32 v29, 7, v0                                   // 0000000025B4: 263A0087
	v_mul_i32_i24_e32 v29, 16, v29                             // 0000000025B8: 0C3A3A90
	v_add_u32_e32 v29, v28, v29                                // 0000000025BC: 683A3B1C
	v_mov_b32_e32 v4, v29                                      // 0000000025C0: 7E08031D
	s_mul_i32 s31, 32, s8                                      // 0000000025C4: 921F08A0
	s_mul_i32 s31, s30, s31                                    // 0000000025C8: 921F1F1E
	v_add_u32_e32 v4, s31, v4                                  // 0000000025CC: 6808081F
	v_lshrrev_b32_e32 v28, 3, v0                               // 0000000025D0: 20380083
	v_mul_i32_i24_e32 v28, s52, v28                            // 0000000025D4: 0C383834
	v_and_b32_e32 v29, 7, v0                                   // 0000000025D8: 263A0087
	v_mul_i32_i24_e32 v29, 16, v29                             // 0000000025DC: 0C3A3A90
	v_add_u32_e32 v29, v28, v29                                // 0000000025E0: 683A3B1C
	v_mov_b32_e32 v37, v29                                     // 0000000025E4: 7E4A031D
	s_mul_i32 s31, 32, s52                                     // 0000000025E8: 921F34A0
	s_mul_i32 s31, s30, s31                                    // 0000000025EC: 921F1F1E
	v_add_u32_e32 v37, s31, v37                                // 0000000025F0: 684A4A1F
	v_lshrrev_b32_e32 v5, 3, v0                                // 0000000025F4: 200A0083
	v_mul_i32_i24_e32 v5, s11, v5                              // 0000000025F8: 0C0A0A0B
	v_and_b32_e32 v28, 7, v0                                   // 0000000025FC: 26380087
	v_lshrrev_b32_e32 v28, 1, v28                              // 000000002600: 20383881
	v_lshlrev_b32_e32 v28, 5, v28                              // 000000002604: 24383885
	v_add_u32_e32 v5, v5, v28                                  // 000000002608: 680A3905
	s_mul_i32 s31, 32, s11                                     // 00000000260C: 921F0BA0
	s_mul_i32 s31, s30, s31                                    // 000000002610: 921F1F1E
	v_add_u32_e32 v5, s31, v5                                  // 000000002614: 680A0A1F
	v_and_b32_e32 v28, 7, v0                                   // 000000002618: 26380087
	v_lshlrev_b32_e32 v28, 3, v28                              // 00000000261C: 24383883
	s_sub_i32 s31, s37, 64                                     // 000000002620: 819FC025
	v_cmp_lt_u32_e64 s[36:37], v28, s31                        // 000000002624: D0C90024 00003F1C
	v_and_b32_e32 v28, 1, v0                                   // 00000000262C: 26380081
	v_cmp_eq_u32_e64 s[38:39], v28, 0                          // 000000002630: D0CA0026 0001011C
	v_lshlrev_b32_e32 v24, 2, v0                               // 000000002638: 24300082
	s_lshl_b32 s31, s30, 8                                     // 00000000263C: 8E1F881E
	v_add_u32_e32 v24, s31, v24                                // 000000002640: 6830301F
	v_lshrrev_b32_e32 v26, 3, v0                               // 000000002644: 20340083
	v_mul_i32_i24_e32 v26, 32, v26                             // 000000002648: 0C3434A0
	v_add_u32_e32 v26, s31, v26                                // 00000000264C: 6834341F
	v_add_u32_e32 v27, 16, v26                                 // 000000002650: 68363490
	v_mov_b32_e32 v22, 0                                       // 000000002654: 7E2C0280
	s_mul_i32 s31, s8, 0                                       // 000000002658: 921F8008
	s_lshl_b32 s31, s31, 3                                     // 00000000265C: 8E1F831F
	v_add_u32_e32 v23, s31, v4                                 // 000000002660: 682E081F
	s_mul_i32 s31, s52, 0                                      // 000000002664: 921F8034
	s_lshl_b32 s31, s31, 3                                     // 000000002668: 8E1F831F
	v_add_u32_e32 v38, s31, v37                                // 00000000266C: 684C4A1F
	v_and_b32_e32 v36, 7, v0                                   // 000000002670: 26480087
	v_cmp_eq_u32_e64 s[48:49], v36, 0                          // 000000002674: D0CA0030 00010124
	buffer_load_dwordx4 v[14:17], v38, s[20:23], 0 offen       // 00000000267C: E05C1000 80050E26
	buffer_load_dwordx4 v[6:9], v23, s[12:15], 0 offen         // 000000002684: E05C1000 80030617
	v_add_u32_e32 v23, 0x80, v23                               // 00000000268C: 682E2EFF 00000080
	v_add_u32_e32 v38, 0x80, v38                               // 000000002694: 684C4CFF 00000080
	s_waitcnt vmcnt(0) expcnt(0) lgkmcnt(0)                    // 00000000269C: BF8C0000
	s_barrier                                                  // 0000000026A0: BF8A0000
	v_mov_b32_e32 v18, 0                                       // 0000000026A4: 7E240280
	v_mov_b32_e32 v10, 0                                       // 0000000026A8: 7E140280
	v_mov_b32_e32 v19, 0                                       // 0000000026AC: 7E260280
	v_mov_b32_e32 v11, 0                                       // 0000000026B0: 7E160280
	v_mov_b32_e32 v20, 0                                       // 0000000026B4: 7E280280
	v_mov_b32_e32 v12, 0                                       // 0000000026B8: 7E180280
	v_mov_b32_e32 v21, 0                                       // 0000000026BC: 7E2A0280
	v_mov_b32_e32 v13, 0                                       // 0000000026C0: 7E1A0280
	s_mov_b64 exec, s[36:37]                                   // 0000000026C4: BEFE0124
	buffer_load_dwordx4 v[18:21], v38, s[20:23], 0 offen       // 0000000026C8: E05C1000 80051226
	buffer_load_dwordx4 v[10:13], v23, s[12:15], 0 offen       // 0000000026D0: E05C1000 80030A17
	s_mov_b64 exec, -1                                         // 0000000026D8: BEFE01C1
	v_add_u32_e32 v23, 0x80, v23                               // 0000000026DC: 682E2EFF 00000080
	v_add_u32_e32 v38, 0x80, v38                               // 0000000026E4: 684C4CFF 00000080
	v_mov_b32_e32 v32, 0                                       // 0000000026EC: 7E400280
	v_and_b32_e32 v28, 0xffff, v6                              // 0000000026F0: 26380CFF 0000FFFF
	v_lshrrev_b32_e32 v29, 16, v6                              // 0000000026F8: 203A0C90
	v_and_b32_e32 v30, 0xffff, v14                             // 0000000026FC: 263C1CFF 0000FFFF
	v_lshrrev_b32_e32 v31, 16, v14                             // 000000002704: 203E1C90
	v_cvt_f32_f16_e32 v28, v28                                 // 000000002708: 7E38171C
	v_cvt_f32_f16_e32 v30, v30                                 // 00000000270C: 7E3C171E
	v_cvt_f32_f16_e32 v29, v29                                 // 000000002710: 7E3A171D
	v_cvt_f32_f16_e32 v31, v31                                 // 000000002714: 7E3E171F
	v_fma_f32 v32, v28, v30, v32                               // 000000002718: D1CB0020 04823D1C
	v_fma_f32 v32, v29, v31, v32                               // 000000002720: D1CB0020 04823F1D
	v_and_b32_e32 v28, 0xffff, v7                              // 000000002728: 26380EFF 0000FFFF
	v_lshrrev_b32_e32 v29, 16, v7                              // 000000002730: 203A0E90
	v_and_b32_e32 v30, 0xffff, v15                             // 000000002734: 263C1EFF 0000FFFF
	v_lshrrev_b32_e32 v31, 16, v15                             // 00000000273C: 203E1E90
	v_cvt_f32_f16_e32 v28, v28                                 // 000000002740: 7E38171C
	v_cvt_f32_f16_e32 v30, v30                                 // 000000002744: 7E3C171E
	v_cvt_f32_f16_e32 v29, v29                                 // 000000002748: 7E3A171D
	v_cvt_f32_f16_e32 v31, v31                                 // 00000000274C: 7E3E171F
	v_fma_f32 v32, v28, v30, v32                               // 000000002750: D1CB0020 04823D1C
	v_fma_f32 v32, v29, v31, v32                               // 000000002758: D1CB0020 04823F1D
	v_and_b32_e32 v28, 0xffff, v8                              // 000000002760: 263810FF 0000FFFF
	v_lshrrev_b32_e32 v29, 16, v8                              // 000000002768: 203A1090
	v_and_b32_e32 v30, 0xffff, v16                             // 00000000276C: 263C20FF 0000FFFF
	v_lshrrev_b32_e32 v31, 16, v16                             // 000000002774: 203E2090
	v_cvt_f32_f16_e32 v28, v28                                 // 000000002778: 7E38171C
	v_cvt_f32_f16_e32 v30, v30                                 // 00000000277C: 7E3C171E
	v_cvt_f32_f16_e32 v29, v29                                 // 000000002780: 7E3A171D
	v_cvt_f32_f16_e32 v31, v31                                 // 000000002784: 7E3E171F
	v_fma_f32 v32, v28, v30, v32                               // 000000002788: D1CB0020 04823D1C
	v_fma_f32 v32, v29, v31, v32                               // 000000002790: D1CB0020 04823F1D
	v_and_b32_e32 v28, 0xffff, v9                              // 000000002798: 263812FF 0000FFFF
	v_lshrrev_b32_e32 v29, 16, v9                              // 0000000027A0: 203A1290
	v_and_b32_e32 v30, 0xffff, v17                             // 0000000027A4: 263C22FF 0000FFFF
	v_lshrrev_b32_e32 v31, 16, v17                             // 0000000027AC: 203E2290
	v_cvt_f32_f16_e32 v28, v28                                 // 0000000027B0: 7E38171C
	v_cvt_f32_f16_e32 v30, v30                                 // 0000000027B4: 7E3C171E
	v_cvt_f32_f16_e32 v29, v29                                 // 0000000027B8: 7E3A171D
	v_cvt_f32_f16_e32 v31, v31                                 // 0000000027BC: 7E3E171F
	v_fma_f32 v32, v28, v30, v32                               // 0000000027C0: D1CB0020 04823D1C
	v_fma_f32 v32, v29, v31, v32                               // 0000000027C8: D1CB0020 04823F1D
	ds_write_b32 v24, v32                                      // 0000000027D0: D81A0000 00002018
	s_waitcnt lgkmcnt(0)                                       // 0000000027D8: BF8CC07F
	s_mov_b64 exec, s[48:49]                                   // 0000000027DC: BEFE0130
	ds_read_b128 v[28:31], v26                                 // 0000000027E0: D9FE0000 1C00001A
	s_waitcnt lgkmcnt(0)                                       // 0000000027E8: BF8CC07F
	ds_read_b128 v[32:35], v27                                 // 0000000027EC: D9FE0000 2000001B
	s_waitcnt lgkmcnt(0)                                       // 0000000027F4: BF8CC07F
	v_add_f32_e32 v22, v28, v22                                // 0000000027F8: 022C2D1C
	v_add_f32_e32 v22, v29, v22                                // 0000000027FC: 022C2D1D
	v_add_f32_e32 v22, v30, v22                                // 000000002800: 022C2D1E
	v_add_f32_e32 v22, v31, v22                                // 000000002804: 022C2D1F
	v_add_f32_e32 v22, v32, v22                                // 000000002808: 022C2D20
	v_add_f32_e32 v22, v33, v22                                // 00000000280C: 022C2D21
	v_add_f32_e32 v22, v34, v22                                // 000000002810: 022C2D22
	v_add_f32_e32 v22, v35, v22                                // 000000002814: 022C2D23
	s_mov_b64 exec, -1                                         // 000000002818: BEFE01C1
	s_waitcnt vmcnt(0) expcnt(0) lgkmcnt(0)                    // 00000000281C: BF8C0000
	s_barrier                                                  // 000000002820: BF8A0000
	v_mov_b32_e32 v32, 0                                       // 000000002824: 7E400280
	v_and_b32_e32 v28, 0xffff, v10                             // 000000002828: 263814FF 0000FFFF
	v_lshrrev_b32_e32 v29, 16, v10                             // 000000002830: 203A1490
	v_and_b32_e32 v30, 0xffff, v18                             // 000000002834: 263C24FF 0000FFFF
	v_lshrrev_b32_e32 v31, 16, v18                             // 00000000283C: 203E2490
	v_cvt_f32_f16_e32 v28, v28                                 // 000000002840: 7E38171C
	v_cvt_f32_f16_e32 v30, v30                                 // 000000002844: 7E3C171E
	v_cvt_f32_f16_e32 v29, v29                                 // 000000002848: 7E3A171D
	v_cvt_f32_f16_e32 v31, v31                                 // 00000000284C: 7E3E171F
	v_fma_f32 v32, v28, v30, v32                               // 000000002850: D1CB0020 04823D1C
	v_fma_f32 v32, v29, v31, v32                               // 000000002858: D1CB0020 04823F1D
	v_and_b32_e32 v28, 0xffff, v11                             // 000000002860: 263816FF 0000FFFF
	v_lshrrev_b32_e32 v29, 16, v11                             // 000000002868: 203A1690
	v_and_b32_e32 v30, 0xffff, v19                             // 00000000286C: 263C26FF 0000FFFF
	v_lshrrev_b32_e32 v31, 16, v19                             // 000000002874: 203E2690
	v_cvt_f32_f16_e32 v28, v28                                 // 000000002878: 7E38171C
	v_cvt_f32_f16_e32 v30, v30                                 // 00000000287C: 7E3C171E
	v_cvt_f32_f16_e32 v29, v29                                 // 000000002880: 7E3A171D
	v_cvt_f32_f16_e32 v31, v31                                 // 000000002884: 7E3E171F
	v_fma_f32 v32, v28, v30, v32                               // 000000002888: D1CB0020 04823D1C
	v_fma_f32 v32, v29, v31, v32                               // 000000002890: D1CB0020 04823F1D
	v_and_b32_e32 v28, 0xffff, v12                             // 000000002898: 263818FF 0000FFFF
	v_lshrrev_b32_e32 v29, 16, v12                             // 0000000028A0: 203A1890
	v_and_b32_e32 v30, 0xffff, v20                             // 0000000028A4: 263C28FF 0000FFFF
	v_lshrrev_b32_e32 v31, 16, v20                             // 0000000028AC: 203E2890
	v_cvt_f32_f16_e32 v28, v28                                 // 0000000028B0: 7E38171C
	v_cvt_f32_f16_e32 v30, v30                                 // 0000000028B4: 7E3C171E
	v_cvt_f32_f16_e32 v29, v29                                 // 0000000028B8: 7E3A171D
	v_cvt_f32_f16_e32 v31, v31                                 // 0000000028BC: 7E3E171F
	v_fma_f32 v32, v28, v30, v32                               // 0000000028C0: D1CB0020 04823D1C
	v_fma_f32 v32, v29, v31, v32                               // 0000000028C8: D1CB0020 04823F1D
	v_and_b32_e32 v28, 0xffff, v13                             // 0000000028D0: 26381AFF 0000FFFF
	v_lshrrev_b32_e32 v29, 16, v13                             // 0000000028D8: 203A1A90
	v_and_b32_e32 v30, 0xffff, v21                             // 0000000028DC: 263C2AFF 0000FFFF
	v_lshrrev_b32_e32 v31, 16, v21                             // 0000000028E4: 203E2A90
	v_cvt_f32_f16_e32 v28, v28                                 // 0000000028E8: 7E38171C
	v_cvt_f32_f16_e32 v30, v30                                 // 0000000028EC: 7E3C171E
	v_cvt_f32_f16_e32 v29, v29                                 // 0000000028F0: 7E3A171D
	v_cvt_f32_f16_e32 v31, v31                                 // 0000000028F4: 7E3E171F
	v_fma_f32 v32, v28, v30, v32                               // 0000000028F8: D1CB0020 04823D1C
	v_fma_f32 v32, v29, v31, v32                               // 000000002900: D1CB0020 04823F1D
	ds_write_b32 v24, v32                                      // 000000002908: D81A0000 00002018
	s_waitcnt lgkmcnt(0)                                       // 000000002910: BF8CC07F
	s_mov_b64 exec, s[48:49]                                   // 000000002914: BEFE0130
	ds_read_b128 v[28:31], v26                                 // 000000002918: D9FE0000 1C00001A
	s_waitcnt lgkmcnt(0)                                       // 000000002920: BF8CC07F
	ds_read_b128 v[32:35], v27                                 // 000000002924: D9FE0000 2000001B
	s_waitcnt lgkmcnt(0)                                       // 00000000292C: BF8CC07F
	v_add_f32_e32 v22, v28, v22                                // 000000002930: 022C2D1C
	v_add_f32_e32 v22, v29, v22                                // 000000002934: 022C2D1D
	v_add_f32_e32 v22, v30, v22                                // 000000002938: 022C2D1E
	v_add_f32_e32 v22, v31, v22                                // 00000000293C: 022C2D1F
	v_add_f32_e32 v22, v32, v22                                // 000000002940: 022C2D20
	v_add_f32_e32 v22, v33, v22                                // 000000002944: 022C2D21
	v_add_f32_e32 v22, v34, v22                                // 000000002948: 022C2D22
	v_add_f32_e32 v22, v35, v22                                // 00000000294C: 022C2D23
	s_mov_b64 exec, -1                                         // 000000002950: BEFE01C1
	s_mul_i32 s31, s8, 1                                       // 000000002954: 921F8108
	s_lshl_b32 s31, s31, 3                                     // 000000002958: 8E1F831F
	v_add_u32_e32 v23, s31, v4                                 // 00000000295C: 682E081F
	s_mul_i32 s31, s52, 1                                      // 000000002960: 921F8134
	s_lshl_b32 s31, s31, 3                                     // 000000002964: 8E1F831F
	v_add_u32_e32 v38, s31, v37                                // 000000002968: 684C4A1F
	v_and_b32_e32 v36, 7, v0                                   // 00000000296C: 26480087
	v_cmp_eq_u32_e64 s[48:49], v36, 2                          // 000000002970: D0CA0030 00010524
	buffer_load_dwordx4 v[14:17], v38, s[20:23], 0 offen       // 000000002978: E05C1000 80050E26
	buffer_load_dwordx4 v[6:9], v23, s[12:15], 0 offen         // 000000002980: E05C1000 80030617
	v_add_u32_e32 v23, 0x80, v23                               // 000000002988: 682E2EFF 00000080
	v_add_u32_e32 v38, 0x80, v38                               // 000000002990: 684C4CFF 00000080
	s_waitcnt vmcnt(0) expcnt(0) lgkmcnt(0)                    // 000000002998: BF8C0000
	s_barrier                                                  // 00000000299C: BF8A0000
	v_mov_b32_e32 v18, 0                                       // 0000000029A0: 7E240280
	v_mov_b32_e32 v10, 0                                       // 0000000029A4: 7E140280
	v_mov_b32_e32 v19, 0                                       // 0000000029A8: 7E260280
	v_mov_b32_e32 v11, 0                                       // 0000000029AC: 7E160280
	v_mov_b32_e32 v20, 0                                       // 0000000029B0: 7E280280
	v_mov_b32_e32 v12, 0                                       // 0000000029B4: 7E180280
	v_mov_b32_e32 v21, 0                                       // 0000000029B8: 7E2A0280
	v_mov_b32_e32 v13, 0                                       // 0000000029BC: 7E1A0280
	s_mov_b64 exec, s[36:37]                                   // 0000000029C0: BEFE0124
	buffer_load_dwordx4 v[18:21], v38, s[20:23], 0 offen       // 0000000029C4: E05C1000 80051226
	buffer_load_dwordx4 v[10:13], v23, s[12:15], 0 offen       // 0000000029CC: E05C1000 80030A17
	s_mov_b64 exec, -1                                         // 0000000029D4: BEFE01C1
	v_add_u32_e32 v23, 0x80, v23                               // 0000000029D8: 682E2EFF 00000080
	v_add_u32_e32 v38, 0x80, v38                               // 0000000029E0: 684C4CFF 00000080
	v_mov_b32_e32 v32, 0                                       // 0000000029E8: 7E400280
	v_and_b32_e32 v28, 0xffff, v6                              // 0000000029EC: 26380CFF 0000FFFF
	v_lshrrev_b32_e32 v29, 16, v6                              // 0000000029F4: 203A0C90
	v_and_b32_e32 v30, 0xffff, v14                             // 0000000029F8: 263C1CFF 0000FFFF
	v_lshrrev_b32_e32 v31, 16, v14                             // 000000002A00: 203E1C90
	v_cvt_f32_f16_e32 v28, v28                                 // 000000002A04: 7E38171C
	v_cvt_f32_f16_e32 v30, v30                                 // 000000002A08: 7E3C171E
	v_cvt_f32_f16_e32 v29, v29                                 // 000000002A0C: 7E3A171D
	v_cvt_f32_f16_e32 v31, v31                                 // 000000002A10: 7E3E171F
	v_fma_f32 v32, v28, v30, v32                               // 000000002A14: D1CB0020 04823D1C
	v_fma_f32 v32, v29, v31, v32                               // 000000002A1C: D1CB0020 04823F1D
	v_and_b32_e32 v28, 0xffff, v7                              // 000000002A24: 26380EFF 0000FFFF
	v_lshrrev_b32_e32 v29, 16, v7                              // 000000002A2C: 203A0E90
	v_and_b32_e32 v30, 0xffff, v15                             // 000000002A30: 263C1EFF 0000FFFF
	v_lshrrev_b32_e32 v31, 16, v15                             // 000000002A38: 203E1E90
	v_cvt_f32_f16_e32 v28, v28                                 // 000000002A3C: 7E38171C
	v_cvt_f32_f16_e32 v30, v30                                 // 000000002A40: 7E3C171E
	v_cvt_f32_f16_e32 v29, v29                                 // 000000002A44: 7E3A171D
	v_cvt_f32_f16_e32 v31, v31                                 // 000000002A48: 7E3E171F
	v_fma_f32 v32, v28, v30, v32                               // 000000002A4C: D1CB0020 04823D1C
	v_fma_f32 v32, v29, v31, v32                               // 000000002A54: D1CB0020 04823F1D
	v_and_b32_e32 v28, 0xffff, v8                              // 000000002A5C: 263810FF 0000FFFF
	v_lshrrev_b32_e32 v29, 16, v8                              // 000000002A64: 203A1090
	v_and_b32_e32 v30, 0xffff, v16                             // 000000002A68: 263C20FF 0000FFFF
	v_lshrrev_b32_e32 v31, 16, v16                             // 000000002A70: 203E2090
	v_cvt_f32_f16_e32 v28, v28                                 // 000000002A74: 7E38171C
	v_cvt_f32_f16_e32 v30, v30                                 // 000000002A78: 7E3C171E
	v_cvt_f32_f16_e32 v29, v29                                 // 000000002A7C: 7E3A171D
	v_cvt_f32_f16_e32 v31, v31                                 // 000000002A80: 7E3E171F
	v_fma_f32 v32, v28, v30, v32                               // 000000002A84: D1CB0020 04823D1C
	v_fma_f32 v32, v29, v31, v32                               // 000000002A8C: D1CB0020 04823F1D
	v_and_b32_e32 v28, 0xffff, v9                              // 000000002A94: 263812FF 0000FFFF
	v_lshrrev_b32_e32 v29, 16, v9                              // 000000002A9C: 203A1290
	v_and_b32_e32 v30, 0xffff, v17                             // 000000002AA0: 263C22FF 0000FFFF
	v_lshrrev_b32_e32 v31, 16, v17                             // 000000002AA8: 203E2290
	v_cvt_f32_f16_e32 v28, v28                                 // 000000002AAC: 7E38171C
	v_cvt_f32_f16_e32 v30, v30                                 // 000000002AB0: 7E3C171E
	v_cvt_f32_f16_e32 v29, v29                                 // 000000002AB4: 7E3A171D
	v_cvt_f32_f16_e32 v31, v31                                 // 000000002AB8: 7E3E171F
	v_fma_f32 v32, v28, v30, v32                               // 000000002ABC: D1CB0020 04823D1C
	v_fma_f32 v32, v29, v31, v32                               // 000000002AC4: D1CB0020 04823F1D
	ds_write_b32 v24, v32                                      // 000000002ACC: D81A0000 00002018
	s_waitcnt lgkmcnt(0)                                       // 000000002AD4: BF8CC07F
	s_mov_b64 exec, s[48:49]                                   // 000000002AD8: BEFE0130
	ds_read_b128 v[28:31], v26                                 // 000000002ADC: D9FE0000 1C00001A
	s_waitcnt lgkmcnt(0)                                       // 000000002AE4: BF8CC07F
	ds_read_b128 v[32:35], v27                                 // 000000002AE8: D9FE0000 2000001B
	s_waitcnt lgkmcnt(0)                                       // 000000002AF0: BF8CC07F
	v_add_f32_e32 v22, v28, v22                                // 000000002AF4: 022C2D1C
	v_add_f32_e32 v22, v29, v22                                // 000000002AF8: 022C2D1D
	v_add_f32_e32 v22, v30, v22                                // 000000002AFC: 022C2D1E
	v_add_f32_e32 v22, v31, v22                                // 000000002B00: 022C2D1F
	v_add_f32_e32 v22, v32, v22                                // 000000002B04: 022C2D20
	v_add_f32_e32 v22, v33, v22                                // 000000002B08: 022C2D21
	v_add_f32_e32 v22, v34, v22                                // 000000002B0C: 022C2D22
	v_add_f32_e32 v22, v35, v22                                // 000000002B10: 022C2D23
	s_mov_b64 exec, -1                                         // 000000002B14: BEFE01C1
	s_waitcnt vmcnt(0) expcnt(0) lgkmcnt(0)                    // 000000002B18: BF8C0000
	s_barrier                                                  // 000000002B1C: BF8A0000
	v_mov_b32_e32 v32, 0                                       // 000000002B20: 7E400280
	v_and_b32_e32 v28, 0xffff, v10                             // 000000002B24: 263814FF 0000FFFF
	v_lshrrev_b32_e32 v29, 16, v10                             // 000000002B2C: 203A1490
	v_and_b32_e32 v30, 0xffff, v18                             // 000000002B30: 263C24FF 0000FFFF
	v_lshrrev_b32_e32 v31, 16, v18                             // 000000002B38: 203E2490
	v_cvt_f32_f16_e32 v28, v28                                 // 000000002B3C: 7E38171C
	v_cvt_f32_f16_e32 v30, v30                                 // 000000002B40: 7E3C171E
	v_cvt_f32_f16_e32 v29, v29                                 // 000000002B44: 7E3A171D
	v_cvt_f32_f16_e32 v31, v31                                 // 000000002B48: 7E3E171F
	v_fma_f32 v32, v28, v30, v32                               // 000000002B4C: D1CB0020 04823D1C
	v_fma_f32 v32, v29, v31, v32                               // 000000002B54: D1CB0020 04823F1D
	v_and_b32_e32 v28, 0xffff, v11                             // 000000002B5C: 263816FF 0000FFFF
	v_lshrrev_b32_e32 v29, 16, v11                             // 000000002B64: 203A1690
	v_and_b32_e32 v30, 0xffff, v19                             // 000000002B68: 263C26FF 0000FFFF
	v_lshrrev_b32_e32 v31, 16, v19                             // 000000002B70: 203E2690
	v_cvt_f32_f16_e32 v28, v28                                 // 000000002B74: 7E38171C
	v_cvt_f32_f16_e32 v30, v30                                 // 000000002B78: 7E3C171E
	v_cvt_f32_f16_e32 v29, v29                                 // 000000002B7C: 7E3A171D
	v_cvt_f32_f16_e32 v31, v31                                 // 000000002B80: 7E3E171F
	v_fma_f32 v32, v28, v30, v32                               // 000000002B84: D1CB0020 04823D1C
	v_fma_f32 v32, v29, v31, v32                               // 000000002B8C: D1CB0020 04823F1D
	v_and_b32_e32 v28, 0xffff, v12                             // 000000002B94: 263818FF 0000FFFF
	v_lshrrev_b32_e32 v29, 16, v12                             // 000000002B9C: 203A1890
	v_and_b32_e32 v30, 0xffff, v20                             // 000000002BA0: 263C28FF 0000FFFF
	v_lshrrev_b32_e32 v31, 16, v20                             // 000000002BA8: 203E2890
	v_cvt_f32_f16_e32 v28, v28                                 // 000000002BAC: 7E38171C
	v_cvt_f32_f16_e32 v30, v30                                 // 000000002BB0: 7E3C171E
	v_cvt_f32_f16_e32 v29, v29                                 // 000000002BB4: 7E3A171D
	v_cvt_f32_f16_e32 v31, v31                                 // 000000002BB8: 7E3E171F
	v_fma_f32 v32, v28, v30, v32                               // 000000002BBC: D1CB0020 04823D1C
	v_fma_f32 v32, v29, v31, v32                               // 000000002BC4: D1CB0020 04823F1D
	v_and_b32_e32 v28, 0xffff, v13                             // 000000002BCC: 26381AFF 0000FFFF
	v_lshrrev_b32_e32 v29, 16, v13                             // 000000002BD4: 203A1A90
	v_and_b32_e32 v30, 0xffff, v21                             // 000000002BD8: 263C2AFF 0000FFFF
	v_lshrrev_b32_e32 v31, 16, v21                             // 000000002BE0: 203E2A90
	v_cvt_f32_f16_e32 v28, v28                                 // 000000002BE4: 7E38171C
	v_cvt_f32_f16_e32 v30, v30                                 // 000000002BE8: 7E3C171E
	v_cvt_f32_f16_e32 v29, v29                                 // 000000002BEC: 7E3A171D
	v_cvt_f32_f16_e32 v31, v31                                 // 000000002BF0: 7E3E171F
	v_fma_f32 v32, v28, v30, v32                               // 000000002BF4: D1CB0020 04823D1C
	v_fma_f32 v32, v29, v31, v32                               // 000000002BFC: D1CB0020 04823F1D
	ds_write_b32 v24, v32                                      // 000000002C04: D81A0000 00002018
	s_waitcnt lgkmcnt(0)                                       // 000000002C0C: BF8CC07F
	s_mov_b64 exec, s[48:49]                                   // 000000002C10: BEFE0130
	ds_read_b128 v[28:31], v26                                 // 000000002C14: D9FE0000 1C00001A
	s_waitcnt lgkmcnt(0)                                       // 000000002C1C: BF8CC07F
	ds_read_b128 v[32:35], v27                                 // 000000002C20: D9FE0000 2000001B
	s_waitcnt lgkmcnt(0)                                       // 000000002C28: BF8CC07F
	v_add_f32_e32 v22, v28, v22                                // 000000002C2C: 022C2D1C
	v_add_f32_e32 v22, v29, v22                                // 000000002C30: 022C2D1D
	v_add_f32_e32 v22, v30, v22                                // 000000002C34: 022C2D1E
	v_add_f32_e32 v22, v31, v22                                // 000000002C38: 022C2D1F
	v_add_f32_e32 v22, v32, v22                                // 000000002C3C: 022C2D20
	v_add_f32_e32 v22, v33, v22                                // 000000002C40: 022C2D21
	v_add_f32_e32 v22, v34, v22                                // 000000002C44: 022C2D22
	v_add_f32_e32 v22, v35, v22                                // 000000002C48: 022C2D23
	s_mov_b64 exec, -1                                         // 000000002C4C: BEFE01C1
	s_mul_i32 s31, s8, 2                                       // 000000002C50: 921F8208
	s_lshl_b32 s31, s31, 3                                     // 000000002C54: 8E1F831F
	v_add_u32_e32 v23, s31, v4                                 // 000000002C58: 682E081F
	s_mul_i32 s31, s52, 2                                      // 000000002C5C: 921F8234
	s_lshl_b32 s31, s31, 3                                     // 000000002C60: 8E1F831F
	v_add_u32_e32 v38, s31, v37                                // 000000002C64: 684C4A1F
	v_and_b32_e32 v36, 7, v0                                   // 000000002C68: 26480087
	v_cmp_eq_u32_e64 s[48:49], v36, 4                          // 000000002C6C: D0CA0030 00010924
	buffer_load_dwordx4 v[14:17], v38, s[20:23], 0 offen       // 000000002C74: E05C1000 80050E26
	buffer_load_dwordx4 v[6:9], v23, s[12:15], 0 offen         // 000000002C7C: E05C1000 80030617
	v_add_u32_e32 v23, 0x80, v23                               // 000000002C84: 682E2EFF 00000080
	v_add_u32_e32 v38, 0x80, v38                               // 000000002C8C: 684C4CFF 00000080
	s_waitcnt vmcnt(0) expcnt(0) lgkmcnt(0)                    // 000000002C94: BF8C0000
	s_barrier                                                  // 000000002C98: BF8A0000
	v_mov_b32_e32 v18, 0                                       // 000000002C9C: 7E240280
	v_mov_b32_e32 v10, 0                                       // 000000002CA0: 7E140280
	v_mov_b32_e32 v19, 0                                       // 000000002CA4: 7E260280
	v_mov_b32_e32 v11, 0                                       // 000000002CA8: 7E160280
	v_mov_b32_e32 v20, 0                                       // 000000002CAC: 7E280280
	v_mov_b32_e32 v12, 0                                       // 000000002CB0: 7E180280
	v_mov_b32_e32 v21, 0                                       // 000000002CB4: 7E2A0280
	v_mov_b32_e32 v13, 0                                       // 000000002CB8: 7E1A0280
	s_mov_b64 exec, s[36:37]                                   // 000000002CBC: BEFE0124
	buffer_load_dwordx4 v[18:21], v38, s[20:23], 0 offen       // 000000002CC0: E05C1000 80051226
	buffer_load_dwordx4 v[10:13], v23, s[12:15], 0 offen       // 000000002CC8: E05C1000 80030A17
	s_mov_b64 exec, -1                                         // 000000002CD0: BEFE01C1
	v_add_u32_e32 v23, 0x80, v23                               // 000000002CD4: 682E2EFF 00000080
	v_add_u32_e32 v38, 0x80, v38                               // 000000002CDC: 684C4CFF 00000080
	v_mov_b32_e32 v32, 0                                       // 000000002CE4: 7E400280
	v_and_b32_e32 v28, 0xffff, v6                              // 000000002CE8: 26380CFF 0000FFFF
	v_lshrrev_b32_e32 v29, 16, v6                              // 000000002CF0: 203A0C90
	v_and_b32_e32 v30, 0xffff, v14                             // 000000002CF4: 263C1CFF 0000FFFF
	v_lshrrev_b32_e32 v31, 16, v14                             // 000000002CFC: 203E1C90
	v_cvt_f32_f16_e32 v28, v28                                 // 000000002D00: 7E38171C
	v_cvt_f32_f16_e32 v30, v30                                 // 000000002D04: 7E3C171E
	v_cvt_f32_f16_e32 v29, v29                                 // 000000002D08: 7E3A171D
	v_cvt_f32_f16_e32 v31, v31                                 // 000000002D0C: 7E3E171F
	v_fma_f32 v32, v28, v30, v32                               // 000000002D10: D1CB0020 04823D1C
	v_fma_f32 v32, v29, v31, v32                               // 000000002D18: D1CB0020 04823F1D
	v_and_b32_e32 v28, 0xffff, v7                              // 000000002D20: 26380EFF 0000FFFF
	v_lshrrev_b32_e32 v29, 16, v7                              // 000000002D28: 203A0E90
	v_and_b32_e32 v30, 0xffff, v15                             // 000000002D2C: 263C1EFF 0000FFFF
	v_lshrrev_b32_e32 v31, 16, v15                             // 000000002D34: 203E1E90
	v_cvt_f32_f16_e32 v28, v28                                 // 000000002D38: 7E38171C
	v_cvt_f32_f16_e32 v30, v30                                 // 000000002D3C: 7E3C171E
	v_cvt_f32_f16_e32 v29, v29                                 // 000000002D40: 7E3A171D
	v_cvt_f32_f16_e32 v31, v31                                 // 000000002D44: 7E3E171F
	v_fma_f32 v32, v28, v30, v32                               // 000000002D48: D1CB0020 04823D1C
	v_fma_f32 v32, v29, v31, v32                               // 000000002D50: D1CB0020 04823F1D
	v_and_b32_e32 v28, 0xffff, v8                              // 000000002D58: 263810FF 0000FFFF
	v_lshrrev_b32_e32 v29, 16, v8                              // 000000002D60: 203A1090
	v_and_b32_e32 v30, 0xffff, v16                             // 000000002D64: 263C20FF 0000FFFF
	v_lshrrev_b32_e32 v31, 16, v16                             // 000000002D6C: 203E2090
	v_cvt_f32_f16_e32 v28, v28                                 // 000000002D70: 7E38171C
	v_cvt_f32_f16_e32 v30, v30                                 // 000000002D74: 7E3C171E
	v_cvt_f32_f16_e32 v29, v29                                 // 000000002D78: 7E3A171D
	v_cvt_f32_f16_e32 v31, v31                                 // 000000002D7C: 7E3E171F
	v_fma_f32 v32, v28, v30, v32                               // 000000002D80: D1CB0020 04823D1C
	v_fma_f32 v32, v29, v31, v32                               // 000000002D88: D1CB0020 04823F1D
	v_and_b32_e32 v28, 0xffff, v9                              // 000000002D90: 263812FF 0000FFFF
	v_lshrrev_b32_e32 v29, 16, v9                              // 000000002D98: 203A1290
	v_and_b32_e32 v30, 0xffff, v17                             // 000000002D9C: 263C22FF 0000FFFF
	v_lshrrev_b32_e32 v31, 16, v17                             // 000000002DA4: 203E2290
	v_cvt_f32_f16_e32 v28, v28                                 // 000000002DA8: 7E38171C
	v_cvt_f32_f16_e32 v30, v30                                 // 000000002DAC: 7E3C171E
	v_cvt_f32_f16_e32 v29, v29                                 // 000000002DB0: 7E3A171D
	v_cvt_f32_f16_e32 v31, v31                                 // 000000002DB4: 7E3E171F
	v_fma_f32 v32, v28, v30, v32                               // 000000002DB8: D1CB0020 04823D1C
	v_fma_f32 v32, v29, v31, v32                               // 000000002DC0: D1CB0020 04823F1D
	ds_write_b32 v24, v32                                      // 000000002DC8: D81A0000 00002018
	s_waitcnt lgkmcnt(0)                                       // 000000002DD0: BF8CC07F
	s_mov_b64 exec, s[48:49]                                   // 000000002DD4: BEFE0130
	ds_read_b128 v[28:31], v26                                 // 000000002DD8: D9FE0000 1C00001A
	s_waitcnt lgkmcnt(0)                                       // 000000002DE0: BF8CC07F
	ds_read_b128 v[32:35], v27                                 // 000000002DE4: D9FE0000 2000001B
	s_waitcnt lgkmcnt(0)                                       // 000000002DEC: BF8CC07F
	v_add_f32_e32 v22, v28, v22                                // 000000002DF0: 022C2D1C
	v_add_f32_e32 v22, v29, v22                                // 000000002DF4: 022C2D1D
	v_add_f32_e32 v22, v30, v22                                // 000000002DF8: 022C2D1E
	v_add_f32_e32 v22, v31, v22                                // 000000002DFC: 022C2D1F
	v_add_f32_e32 v22, v32, v22                                // 000000002E00: 022C2D20
	v_add_f32_e32 v22, v33, v22                                // 000000002E04: 022C2D21
	v_add_f32_e32 v22, v34, v22                                // 000000002E08: 022C2D22
	v_add_f32_e32 v22, v35, v22                                // 000000002E0C: 022C2D23
	s_mov_b64 exec, -1                                         // 000000002E10: BEFE01C1
	s_waitcnt vmcnt(0) expcnt(0) lgkmcnt(0)                    // 000000002E14: BF8C0000
	s_barrier                                                  // 000000002E18: BF8A0000
	v_mov_b32_e32 v32, 0                                       // 000000002E1C: 7E400280
	v_and_b32_e32 v28, 0xffff, v10                             // 000000002E20: 263814FF 0000FFFF
	v_lshrrev_b32_e32 v29, 16, v10                             // 000000002E28: 203A1490
	v_and_b32_e32 v30, 0xffff, v18                             // 000000002E2C: 263C24FF 0000FFFF
	v_lshrrev_b32_e32 v31, 16, v18                             // 000000002E34: 203E2490
	v_cvt_f32_f16_e32 v28, v28                                 // 000000002E38: 7E38171C
	v_cvt_f32_f16_e32 v30, v30                                 // 000000002E3C: 7E3C171E
	v_cvt_f32_f16_e32 v29, v29                                 // 000000002E40: 7E3A171D
	v_cvt_f32_f16_e32 v31, v31                                 // 000000002E44: 7E3E171F
	v_fma_f32 v32, v28, v30, v32                               // 000000002E48: D1CB0020 04823D1C
	v_fma_f32 v32, v29, v31, v32                               // 000000002E50: D1CB0020 04823F1D
	v_and_b32_e32 v28, 0xffff, v11                             // 000000002E58: 263816FF 0000FFFF
	v_lshrrev_b32_e32 v29, 16, v11                             // 000000002E60: 203A1690
	v_and_b32_e32 v30, 0xffff, v19                             // 000000002E64: 263C26FF 0000FFFF
	v_lshrrev_b32_e32 v31, 16, v19                             // 000000002E6C: 203E2690
	v_cvt_f32_f16_e32 v28, v28                                 // 000000002E70: 7E38171C
	v_cvt_f32_f16_e32 v30, v30                                 // 000000002E74: 7E3C171E
	v_cvt_f32_f16_e32 v29, v29                                 // 000000002E78: 7E3A171D
	v_cvt_f32_f16_e32 v31, v31                                 // 000000002E7C: 7E3E171F
	v_fma_f32 v32, v28, v30, v32                               // 000000002E80: D1CB0020 04823D1C
	v_fma_f32 v32, v29, v31, v32                               // 000000002E88: D1CB0020 04823F1D
	v_and_b32_e32 v28, 0xffff, v12                             // 000000002E90: 263818FF 0000FFFF
	v_lshrrev_b32_e32 v29, 16, v12                             // 000000002E98: 203A1890
	v_and_b32_e32 v30, 0xffff, v20                             // 000000002E9C: 263C28FF 0000FFFF
	v_lshrrev_b32_e32 v31, 16, v20                             // 000000002EA4: 203E2890
	v_cvt_f32_f16_e32 v28, v28                                 // 000000002EA8: 7E38171C
	v_cvt_f32_f16_e32 v30, v30                                 // 000000002EAC: 7E3C171E
	v_cvt_f32_f16_e32 v29, v29                                 // 000000002EB0: 7E3A171D
	v_cvt_f32_f16_e32 v31, v31                                 // 000000002EB4: 7E3E171F
	v_fma_f32 v32, v28, v30, v32                               // 000000002EB8: D1CB0020 04823D1C
	v_fma_f32 v32, v29, v31, v32                               // 000000002EC0: D1CB0020 04823F1D
	v_and_b32_e32 v28, 0xffff, v13                             // 000000002EC8: 26381AFF 0000FFFF
	v_lshrrev_b32_e32 v29, 16, v13                             // 000000002ED0: 203A1A90
	v_and_b32_e32 v30, 0xffff, v21                             // 000000002ED4: 263C2AFF 0000FFFF
	v_lshrrev_b32_e32 v31, 16, v21                             // 000000002EDC: 203E2A90
	v_cvt_f32_f16_e32 v28, v28                                 // 000000002EE0: 7E38171C
	v_cvt_f32_f16_e32 v30, v30                                 // 000000002EE4: 7E3C171E
	v_cvt_f32_f16_e32 v29, v29                                 // 000000002EE8: 7E3A171D
	v_cvt_f32_f16_e32 v31, v31                                 // 000000002EEC: 7E3E171F
	v_fma_f32 v32, v28, v30, v32                               // 000000002EF0: D1CB0020 04823D1C
	v_fma_f32 v32, v29, v31, v32                               // 000000002EF8: D1CB0020 04823F1D
	ds_write_b32 v24, v32                                      // 000000002F00: D81A0000 00002018
	s_waitcnt lgkmcnt(0)                                       // 000000002F08: BF8CC07F
	s_mov_b64 exec, s[48:49]                                   // 000000002F0C: BEFE0130
	ds_read_b128 v[28:31], v26                                 // 000000002F10: D9FE0000 1C00001A
	s_waitcnt lgkmcnt(0)                                       // 000000002F18: BF8CC07F
	ds_read_b128 v[32:35], v27                                 // 000000002F1C: D9FE0000 2000001B
	s_waitcnt lgkmcnt(0)                                       // 000000002F24: BF8CC07F
	v_add_f32_e32 v22, v28, v22                                // 000000002F28: 022C2D1C
	v_add_f32_e32 v22, v29, v22                                // 000000002F2C: 022C2D1D
	v_add_f32_e32 v22, v30, v22                                // 000000002F30: 022C2D1E
	v_add_f32_e32 v22, v31, v22                                // 000000002F34: 022C2D1F
	v_add_f32_e32 v22, v32, v22                                // 000000002F38: 022C2D20
	v_add_f32_e32 v22, v33, v22                                // 000000002F3C: 022C2D21
	v_add_f32_e32 v22, v34, v22                                // 000000002F40: 022C2D22
	v_add_f32_e32 v22, v35, v22                                // 000000002F44: 022C2D23
	s_mov_b64 exec, -1                                         // 000000002F48: BEFE01C1
	s_mul_i32 s31, s8, 3                                       // 000000002F4C: 921F8308
	s_lshl_b32 s31, s31, 3                                     // 000000002F50: 8E1F831F
	v_add_u32_e32 v23, s31, v4                                 // 000000002F54: 682E081F
	s_mul_i32 s31, s52, 3                                      // 000000002F58: 921F8334
	s_lshl_b32 s31, s31, 3                                     // 000000002F5C: 8E1F831F
	v_add_u32_e32 v38, s31, v37                                // 000000002F60: 684C4A1F
	v_and_b32_e32 v36, 7, v0                                   // 000000002F64: 26480087
	v_cmp_eq_u32_e64 s[48:49], v36, 6                          // 000000002F68: D0CA0030 00010D24
	buffer_load_dwordx4 v[14:17], v38, s[20:23], 0 offen       // 000000002F70: E05C1000 80050E26
	buffer_load_dwordx4 v[6:9], v23, s[12:15], 0 offen         // 000000002F78: E05C1000 80030617
	v_add_u32_e32 v23, 0x80, v23                               // 000000002F80: 682E2EFF 00000080
	v_add_u32_e32 v38, 0x80, v38                               // 000000002F88: 684C4CFF 00000080
	s_waitcnt vmcnt(0) expcnt(0) lgkmcnt(0)                    // 000000002F90: BF8C0000
	s_barrier                                                  // 000000002F94: BF8A0000
	v_mov_b32_e32 v18, 0                                       // 000000002F98: 7E240280
	v_mov_b32_e32 v10, 0                                       // 000000002F9C: 7E140280
	v_mov_b32_e32 v19, 0                                       // 000000002FA0: 7E260280
	v_mov_b32_e32 v11, 0                                       // 000000002FA4: 7E160280
	v_mov_b32_e32 v20, 0                                       // 000000002FA8: 7E280280
	v_mov_b32_e32 v12, 0                                       // 000000002FAC: 7E180280
	v_mov_b32_e32 v21, 0                                       // 000000002FB0: 7E2A0280
	v_mov_b32_e32 v13, 0                                       // 000000002FB4: 7E1A0280
	s_mov_b64 exec, s[36:37]                                   // 000000002FB8: BEFE0124
	buffer_load_dwordx4 v[18:21], v38, s[20:23], 0 offen       // 000000002FBC: E05C1000 80051226
	buffer_load_dwordx4 v[10:13], v23, s[12:15], 0 offen       // 000000002FC4: E05C1000 80030A17
	s_mov_b64 exec, -1                                         // 000000002FCC: BEFE01C1
	v_add_u32_e32 v23, 0x80, v23                               // 000000002FD0: 682E2EFF 00000080
	v_add_u32_e32 v38, 0x80, v38                               // 000000002FD8: 684C4CFF 00000080
	v_mov_b32_e32 v32, 0                                       // 000000002FE0: 7E400280
	v_and_b32_e32 v28, 0xffff, v6                              // 000000002FE4: 26380CFF 0000FFFF
	v_lshrrev_b32_e32 v29, 16, v6                              // 000000002FEC: 203A0C90
	v_and_b32_e32 v30, 0xffff, v14                             // 000000002FF0: 263C1CFF 0000FFFF
	v_lshrrev_b32_e32 v31, 16, v14                             // 000000002FF8: 203E1C90
	v_cvt_f32_f16_e32 v28, v28                                 // 000000002FFC: 7E38171C
	v_cvt_f32_f16_e32 v30, v30                                 // 000000003000: 7E3C171E
	v_cvt_f32_f16_e32 v29, v29                                 // 000000003004: 7E3A171D
	v_cvt_f32_f16_e32 v31, v31                                 // 000000003008: 7E3E171F
	v_fma_f32 v32, v28, v30, v32                               // 00000000300C: D1CB0020 04823D1C
	v_fma_f32 v32, v29, v31, v32                               // 000000003014: D1CB0020 04823F1D
	v_and_b32_e32 v28, 0xffff, v7                              // 00000000301C: 26380EFF 0000FFFF
	v_lshrrev_b32_e32 v29, 16, v7                              // 000000003024: 203A0E90
	v_and_b32_e32 v30, 0xffff, v15                             // 000000003028: 263C1EFF 0000FFFF
	v_lshrrev_b32_e32 v31, 16, v15                             // 000000003030: 203E1E90
	v_cvt_f32_f16_e32 v28, v28                                 // 000000003034: 7E38171C
	v_cvt_f32_f16_e32 v30, v30                                 // 000000003038: 7E3C171E
	v_cvt_f32_f16_e32 v29, v29                                 // 00000000303C: 7E3A171D
	v_cvt_f32_f16_e32 v31, v31                                 // 000000003040: 7E3E171F
	v_fma_f32 v32, v28, v30, v32                               // 000000003044: D1CB0020 04823D1C
	v_fma_f32 v32, v29, v31, v32                               // 00000000304C: D1CB0020 04823F1D
	v_and_b32_e32 v28, 0xffff, v8                              // 000000003054: 263810FF 0000FFFF
	v_lshrrev_b32_e32 v29, 16, v8                              // 00000000305C: 203A1090
	v_and_b32_e32 v30, 0xffff, v16                             // 000000003060: 263C20FF 0000FFFF
	v_lshrrev_b32_e32 v31, 16, v16                             // 000000003068: 203E2090
	v_cvt_f32_f16_e32 v28, v28                                 // 00000000306C: 7E38171C
	v_cvt_f32_f16_e32 v30, v30                                 // 000000003070: 7E3C171E
	v_cvt_f32_f16_e32 v29, v29                                 // 000000003074: 7E3A171D
	v_cvt_f32_f16_e32 v31, v31                                 // 000000003078: 7E3E171F
	v_fma_f32 v32, v28, v30, v32                               // 00000000307C: D1CB0020 04823D1C
	v_fma_f32 v32, v29, v31, v32                               // 000000003084: D1CB0020 04823F1D
	v_and_b32_e32 v28, 0xffff, v9                              // 00000000308C: 263812FF 0000FFFF
	v_lshrrev_b32_e32 v29, 16, v9                              // 000000003094: 203A1290
	v_and_b32_e32 v30, 0xffff, v17                             // 000000003098: 263C22FF 0000FFFF
	v_lshrrev_b32_e32 v31, 16, v17                             // 0000000030A0: 203E2290
	v_cvt_f32_f16_e32 v28, v28                                 // 0000000030A4: 7E38171C
	v_cvt_f32_f16_e32 v30, v30                                 // 0000000030A8: 7E3C171E
	v_cvt_f32_f16_e32 v29, v29                                 // 0000000030AC: 7E3A171D
	v_cvt_f32_f16_e32 v31, v31                                 // 0000000030B0: 7E3E171F
	v_fma_f32 v32, v28, v30, v32                               // 0000000030B4: D1CB0020 04823D1C
	v_fma_f32 v32, v29, v31, v32                               // 0000000030BC: D1CB0020 04823F1D
	ds_write_b32 v24, v32                                      // 0000000030C4: D81A0000 00002018
	s_waitcnt lgkmcnt(0)                                       // 0000000030CC: BF8CC07F
	s_mov_b64 exec, s[48:49]                                   // 0000000030D0: BEFE0130
	ds_read_b128 v[28:31], v26                                 // 0000000030D4: D9FE0000 1C00001A
	s_waitcnt lgkmcnt(0)                                       // 0000000030DC: BF8CC07F
	ds_read_b128 v[32:35], v27                                 // 0000000030E0: D9FE0000 2000001B
	s_waitcnt lgkmcnt(0)                                       // 0000000030E8: BF8CC07F
	v_add_f32_e32 v22, v28, v22                                // 0000000030EC: 022C2D1C
	v_add_f32_e32 v22, v29, v22                                // 0000000030F0: 022C2D1D
	v_add_f32_e32 v22, v30, v22                                // 0000000030F4: 022C2D1E
	v_add_f32_e32 v22, v31, v22                                // 0000000030F8: 022C2D1F
	v_add_f32_e32 v22, v32, v22                                // 0000000030FC: 022C2D20
	v_add_f32_e32 v22, v33, v22                                // 000000003100: 022C2D21
	v_add_f32_e32 v22, v34, v22                                // 000000003104: 022C2D22
	v_add_f32_e32 v22, v35, v22                                // 000000003108: 022C2D23
	s_mov_b64 exec, -1                                         // 00000000310C: BEFE01C1
	s_waitcnt vmcnt(0) expcnt(0) lgkmcnt(0)                    // 000000003110: BF8C0000
	s_barrier                                                  // 000000003114: BF8A0000
	v_mov_b32_e32 v32, 0                                       // 000000003118: 7E400280
	v_and_b32_e32 v28, 0xffff, v10                             // 00000000311C: 263814FF 0000FFFF
	v_lshrrev_b32_e32 v29, 16, v10                             // 000000003124: 203A1490
	v_and_b32_e32 v30, 0xffff, v18                             // 000000003128: 263C24FF 0000FFFF
	v_lshrrev_b32_e32 v31, 16, v18                             // 000000003130: 203E2490
	v_cvt_f32_f16_e32 v28, v28                                 // 000000003134: 7E38171C
	v_cvt_f32_f16_e32 v30, v30                                 // 000000003138: 7E3C171E
	v_cvt_f32_f16_e32 v29, v29                                 // 00000000313C: 7E3A171D
	v_cvt_f32_f16_e32 v31, v31                                 // 000000003140: 7E3E171F
	v_fma_f32 v32, v28, v30, v32                               // 000000003144: D1CB0020 04823D1C
	v_fma_f32 v32, v29, v31, v32                               // 00000000314C: D1CB0020 04823F1D
	v_and_b32_e32 v28, 0xffff, v11                             // 000000003154: 263816FF 0000FFFF
	v_lshrrev_b32_e32 v29, 16, v11                             // 00000000315C: 203A1690
	v_and_b32_e32 v30, 0xffff, v19                             // 000000003160: 263C26FF 0000FFFF
	v_lshrrev_b32_e32 v31, 16, v19                             // 000000003168: 203E2690
	v_cvt_f32_f16_e32 v28, v28                                 // 00000000316C: 7E38171C
	v_cvt_f32_f16_e32 v30, v30                                 // 000000003170: 7E3C171E
	v_cvt_f32_f16_e32 v29, v29                                 // 000000003174: 7E3A171D
	v_cvt_f32_f16_e32 v31, v31                                 // 000000003178: 7E3E171F
	v_fma_f32 v32, v28, v30, v32                               // 00000000317C: D1CB0020 04823D1C
	v_fma_f32 v32, v29, v31, v32                               // 000000003184: D1CB0020 04823F1D
	v_and_b32_e32 v28, 0xffff, v12                             // 00000000318C: 263818FF 0000FFFF
	v_lshrrev_b32_e32 v29, 16, v12                             // 000000003194: 203A1890
	v_and_b32_e32 v30, 0xffff, v20                             // 000000003198: 263C28FF 0000FFFF
	v_lshrrev_b32_e32 v31, 16, v20                             // 0000000031A0: 203E2890
	v_cvt_f32_f16_e32 v28, v28                                 // 0000000031A4: 7E38171C
	v_cvt_f32_f16_e32 v30, v30                                 // 0000000031A8: 7E3C171E
	v_cvt_f32_f16_e32 v29, v29                                 // 0000000031AC: 7E3A171D
	v_cvt_f32_f16_e32 v31, v31                                 // 0000000031B0: 7E3E171F
	v_fma_f32 v32, v28, v30, v32                               // 0000000031B4: D1CB0020 04823D1C
	v_fma_f32 v32, v29, v31, v32                               // 0000000031BC: D1CB0020 04823F1D
	v_and_b32_e32 v28, 0xffff, v13                             // 0000000031C4: 26381AFF 0000FFFF
	v_lshrrev_b32_e32 v29, 16, v13                             // 0000000031CC: 203A1A90
	v_and_b32_e32 v30, 0xffff, v21                             // 0000000031D0: 263C2AFF 0000FFFF
	v_lshrrev_b32_e32 v31, 16, v21                             // 0000000031D8: 203E2A90
	v_cvt_f32_f16_e32 v28, v28                                 // 0000000031DC: 7E38171C
	v_cvt_f32_f16_e32 v30, v30                                 // 0000000031E0: 7E3C171E
	v_cvt_f32_f16_e32 v29, v29                                 // 0000000031E4: 7E3A171D
	v_cvt_f32_f16_e32 v31, v31                                 // 0000000031E8: 7E3E171F
	v_fma_f32 v32, v28, v30, v32                               // 0000000031EC: D1CB0020 04823D1C
	v_fma_f32 v32, v29, v31, v32                               // 0000000031F4: D1CB0020 04823F1D
	ds_write_b32 v24, v32                                      // 0000000031FC: D81A0000 00002018
	s_waitcnt lgkmcnt(0)                                       // 000000003204: BF8CC07F
	s_mov_b64 exec, s[48:49]                                   // 000000003208: BEFE0130
	ds_read_b128 v[28:31], v26                                 // 00000000320C: D9FE0000 1C00001A
	s_waitcnt lgkmcnt(0)                                       // 000000003214: BF8CC07F
	ds_read_b128 v[32:35], v27                                 // 000000003218: D9FE0000 2000001B
	s_waitcnt lgkmcnt(0)                                       // 000000003220: BF8CC07F
	v_add_f32_e32 v22, v28, v22                                // 000000003224: 022C2D1C
	v_add_f32_e32 v22, v29, v22                                // 000000003228: 022C2D1D
	v_add_f32_e32 v22, v30, v22                                // 00000000322C: 022C2D1E
	v_add_f32_e32 v22, v31, v22                                // 000000003230: 022C2D1F
	v_add_f32_e32 v22, v32, v22                                // 000000003234: 022C2D20
	v_add_f32_e32 v22, v33, v22                                // 000000003238: 022C2D21
	v_add_f32_e32 v22, v34, v22                                // 00000000323C: 022C2D22
	v_add_f32_e32 v22, v35, v22                                // 000000003240: 022C2D23
	s_mov_b64 exec, -1                                         // 000000003244: BEFE01C1
	s_mov_b64 exec, s[38:39]                                   // 000000003248: BEFE0126
	buffer_store_dword v22, v5, s[16:19], 0 offen              // 00000000324C: E0701000 80041605
	s_waitcnt vmcnt(0) expcnt(0) lgkmcnt(0)                    // 000000003254: BF8C0000
	s_endpgm                                                   // 000000003258: BF810000
